;; amdgpu-corpus repo=ROCm/rocFFT kind=compiled arch=gfx906 opt=O3
	.text
	.amdgcn_target "amdgcn-amd-amdhsa--gfx906"
	.amdhsa_code_object_version 6
	.protected	fft_rtc_fwd_len1540_factors_11_2_7_5_2_wgs_154_tpt_154_halfLds_sp_op_CI_CI_unitstride_sbrr_dirReg ; -- Begin function fft_rtc_fwd_len1540_factors_11_2_7_5_2_wgs_154_tpt_154_halfLds_sp_op_CI_CI_unitstride_sbrr_dirReg
	.globl	fft_rtc_fwd_len1540_factors_11_2_7_5_2_wgs_154_tpt_154_halfLds_sp_op_CI_CI_unitstride_sbrr_dirReg
	.p2align	8
	.type	fft_rtc_fwd_len1540_factors_11_2_7_5_2_wgs_154_tpt_154_halfLds_sp_op_CI_CI_unitstride_sbrr_dirReg,@function
fft_rtc_fwd_len1540_factors_11_2_7_5_2_wgs_154_tpt_154_halfLds_sp_op_CI_CI_unitstride_sbrr_dirReg: ; @fft_rtc_fwd_len1540_factors_11_2_7_5_2_wgs_154_tpt_154_halfLds_sp_op_CI_CI_unitstride_sbrr_dirReg
; %bb.0:
	s_load_dwordx4 s[8:11], s[4:5], 0x58
	s_load_dwordx4 s[12:15], s[4:5], 0x0
	;; [unrolled: 1-line block ×3, first 2 shown]
	v_mul_u32_u24_e32 v1, 0x1aa, v0
	v_mov_b32_e32 v5, 0
	v_mov_b32_e32 v8, 0
	s_waitcnt lgkmcnt(0)
	v_cmp_lt_u64_e64 s[0:1], s[14:15], 2
	v_add_u32_sdwa v10, s6, v1 dst_sel:DWORD dst_unused:UNUSED_PAD src0_sel:DWORD src1_sel:WORD_1
	v_mov_b32_e32 v11, v5
	s_and_b64 vcc, exec, s[0:1]
	v_mov_b32_e32 v9, 0
	s_cbranch_vccnz .LBB0_8
; %bb.1:
	s_load_dwordx2 s[0:1], s[4:5], 0x10
	s_add_u32 s2, s18, 8
	s_addc_u32 s3, s19, 0
	s_add_u32 s6, s16, 8
	s_addc_u32 s7, s17, 0
	v_mov_b32_e32 v8, 0
	s_waitcnt lgkmcnt(0)
	s_add_u32 s20, s0, 8
	v_mov_b32_e32 v9, 0
	v_mov_b32_e32 v1, v8
	s_addc_u32 s21, s1, 0
	s_mov_b64 s[22:23], 1
	v_mov_b32_e32 v2, v9
.LBB0_2:                                ; =>This Inner Loop Header: Depth=1
	s_load_dwordx2 s[24:25], s[20:21], 0x0
                                        ; implicit-def: $vgpr3_vgpr4
	s_waitcnt lgkmcnt(0)
	v_or_b32_e32 v6, s25, v11
	v_cmp_ne_u64_e32 vcc, 0, v[5:6]
	s_and_saveexec_b64 s[0:1], vcc
	s_xor_b64 s[26:27], exec, s[0:1]
	s_cbranch_execz .LBB0_4
; %bb.3:                                ;   in Loop: Header=BB0_2 Depth=1
	v_cvt_f32_u32_e32 v3, s24
	v_cvt_f32_u32_e32 v4, s25
	s_sub_u32 s0, 0, s24
	s_subb_u32 s1, 0, s25
	v_mac_f32_e32 v3, 0x4f800000, v4
	v_rcp_f32_e32 v3, v3
	v_mul_f32_e32 v3, 0x5f7ffffc, v3
	v_mul_f32_e32 v4, 0x2f800000, v3
	v_trunc_f32_e32 v4, v4
	v_mac_f32_e32 v3, 0xcf800000, v4
	v_cvt_u32_f32_e32 v4, v4
	v_cvt_u32_f32_e32 v3, v3
	v_mul_lo_u32 v6, s0, v4
	v_mul_hi_u32 v7, s0, v3
	v_mul_lo_u32 v13, s1, v3
	v_mul_lo_u32 v12, s0, v3
	v_add_u32_e32 v6, v7, v6
	v_add_u32_e32 v6, v6, v13
	v_mul_hi_u32 v7, v3, v12
	v_mul_lo_u32 v13, v3, v6
	v_mul_hi_u32 v15, v3, v6
	v_mul_hi_u32 v14, v4, v12
	v_mul_lo_u32 v12, v4, v12
	v_mul_hi_u32 v16, v4, v6
	v_add_co_u32_e32 v7, vcc, v7, v13
	v_addc_co_u32_e32 v13, vcc, 0, v15, vcc
	v_mul_lo_u32 v6, v4, v6
	v_add_co_u32_e32 v7, vcc, v7, v12
	v_addc_co_u32_e32 v7, vcc, v13, v14, vcc
	v_addc_co_u32_e32 v12, vcc, 0, v16, vcc
	v_add_co_u32_e32 v6, vcc, v7, v6
	v_addc_co_u32_e32 v7, vcc, 0, v12, vcc
	v_add_co_u32_e32 v3, vcc, v3, v6
	v_addc_co_u32_e32 v4, vcc, v4, v7, vcc
	v_mul_lo_u32 v6, s0, v4
	v_mul_hi_u32 v7, s0, v3
	v_mul_lo_u32 v12, s1, v3
	v_mul_lo_u32 v13, s0, v3
	v_add_u32_e32 v6, v7, v6
	v_add_u32_e32 v6, v6, v12
	v_mul_lo_u32 v14, v3, v6
	v_mul_hi_u32 v15, v3, v13
	v_mul_hi_u32 v16, v3, v6
	v_mul_hi_u32 v12, v4, v13
	v_mul_lo_u32 v13, v4, v13
	v_mul_hi_u32 v7, v4, v6
	v_add_co_u32_e32 v14, vcc, v15, v14
	v_addc_co_u32_e32 v15, vcc, 0, v16, vcc
	v_mul_lo_u32 v6, v4, v6
	v_add_co_u32_e32 v13, vcc, v14, v13
	v_addc_co_u32_e32 v12, vcc, v15, v12, vcc
	v_addc_co_u32_e32 v7, vcc, 0, v7, vcc
	v_add_co_u32_e32 v6, vcc, v12, v6
	v_addc_co_u32_e32 v7, vcc, 0, v7, vcc
	v_add_co_u32_e32 v6, vcc, v3, v6
	v_addc_co_u32_e32 v7, vcc, v4, v7, vcc
	v_mad_u64_u32 v[3:4], s[0:1], v10, v7, 0
	v_mul_hi_u32 v12, v10, v6
	v_add_co_u32_e32 v12, vcc, v12, v3
	v_addc_co_u32_e32 v13, vcc, 0, v4, vcc
	v_mad_u64_u32 v[3:4], s[0:1], v11, v6, 0
	v_mad_u64_u32 v[6:7], s[0:1], v11, v7, 0
	v_add_co_u32_e32 v3, vcc, v12, v3
	v_addc_co_u32_e32 v3, vcc, v13, v4, vcc
	v_addc_co_u32_e32 v4, vcc, 0, v7, vcc
	v_add_co_u32_e32 v6, vcc, v3, v6
	v_addc_co_u32_e32 v7, vcc, 0, v4, vcc
	v_mul_lo_u32 v12, s25, v6
	v_mul_lo_u32 v13, s24, v7
	v_mad_u64_u32 v[3:4], s[0:1], s24, v6, 0
	v_add3_u32 v4, v4, v13, v12
	v_sub_u32_e32 v12, v11, v4
	v_mov_b32_e32 v13, s25
	v_sub_co_u32_e32 v3, vcc, v10, v3
	v_subb_co_u32_e64 v12, s[0:1], v12, v13, vcc
	v_subrev_co_u32_e64 v13, s[0:1], s24, v3
	v_subbrev_co_u32_e64 v12, s[0:1], 0, v12, s[0:1]
	v_cmp_le_u32_e64 s[0:1], s25, v12
	v_cndmask_b32_e64 v14, 0, -1, s[0:1]
	v_cmp_le_u32_e64 s[0:1], s24, v13
	v_cndmask_b32_e64 v13, 0, -1, s[0:1]
	v_cmp_eq_u32_e64 s[0:1], s25, v12
	v_cndmask_b32_e64 v12, v14, v13, s[0:1]
	v_add_co_u32_e64 v13, s[0:1], 2, v6
	v_addc_co_u32_e64 v14, s[0:1], 0, v7, s[0:1]
	v_add_co_u32_e64 v15, s[0:1], 1, v6
	v_addc_co_u32_e64 v16, s[0:1], 0, v7, s[0:1]
	v_subb_co_u32_e32 v4, vcc, v11, v4, vcc
	v_cmp_ne_u32_e64 s[0:1], 0, v12
	v_cmp_le_u32_e32 vcc, s25, v4
	v_cndmask_b32_e64 v12, v16, v14, s[0:1]
	v_cndmask_b32_e64 v14, 0, -1, vcc
	v_cmp_le_u32_e32 vcc, s24, v3
	v_cndmask_b32_e64 v3, 0, -1, vcc
	v_cmp_eq_u32_e32 vcc, s25, v4
	v_cndmask_b32_e32 v3, v14, v3, vcc
	v_cmp_ne_u32_e32 vcc, 0, v3
	v_cndmask_b32_e64 v3, v15, v13, s[0:1]
	v_cndmask_b32_e32 v4, v7, v12, vcc
	v_cndmask_b32_e32 v3, v6, v3, vcc
.LBB0_4:                                ;   in Loop: Header=BB0_2 Depth=1
	s_andn2_saveexec_b64 s[0:1], s[26:27]
	s_cbranch_execz .LBB0_6
; %bb.5:                                ;   in Loop: Header=BB0_2 Depth=1
	v_cvt_f32_u32_e32 v3, s24
	s_sub_i32 s26, 0, s24
	v_rcp_iflag_f32_e32 v3, v3
	v_mul_f32_e32 v3, 0x4f7ffffe, v3
	v_cvt_u32_f32_e32 v3, v3
	v_mul_lo_u32 v4, s26, v3
	v_mul_hi_u32 v4, v3, v4
	v_add_u32_e32 v3, v3, v4
	v_mul_hi_u32 v3, v10, v3
	v_mul_lo_u32 v4, v3, s24
	v_add_u32_e32 v6, 1, v3
	v_sub_u32_e32 v4, v10, v4
	v_subrev_u32_e32 v7, s24, v4
	v_cmp_le_u32_e32 vcc, s24, v4
	v_cndmask_b32_e32 v4, v4, v7, vcc
	v_cndmask_b32_e32 v3, v3, v6, vcc
	v_add_u32_e32 v6, 1, v3
	v_cmp_le_u32_e32 vcc, s24, v4
	v_cndmask_b32_e32 v3, v3, v6, vcc
	v_mov_b32_e32 v4, v5
.LBB0_6:                                ;   in Loop: Header=BB0_2 Depth=1
	s_or_b64 exec, exec, s[0:1]
	v_mul_lo_u32 v12, v4, s24
	v_mul_lo_u32 v13, v3, s25
	v_mad_u64_u32 v[6:7], s[0:1], v3, s24, 0
	s_load_dwordx2 s[0:1], s[6:7], 0x0
	s_load_dwordx2 s[24:25], s[2:3], 0x0
	v_add3_u32 v7, v7, v13, v12
	v_sub_co_u32_e32 v6, vcc, v10, v6
	v_subb_co_u32_e32 v7, vcc, v11, v7, vcc
	s_waitcnt lgkmcnt(0)
	v_mul_lo_u32 v10, s0, v7
	v_mul_lo_u32 v11, s1, v6
	v_mad_u64_u32 v[8:9], s[0:1], s0, v6, v[8:9]
	v_mul_lo_u32 v7, s24, v7
	v_mul_lo_u32 v12, s25, v6
	v_mad_u64_u32 v[1:2], s[0:1], s24, v6, v[1:2]
	s_add_u32 s22, s22, 1
	s_addc_u32 s23, s23, 0
	s_add_u32 s2, s2, 8
	v_add3_u32 v2, v12, v2, v7
	s_addc_u32 s3, s3, 0
	v_mov_b32_e32 v6, s14
	s_add_u32 s6, s6, 8
	v_mov_b32_e32 v7, s15
	s_addc_u32 s7, s7, 0
	v_cmp_ge_u64_e32 vcc, s[22:23], v[6:7]
	s_add_u32 s20, s20, 8
	v_add3_u32 v9, v11, v9, v10
	s_addc_u32 s21, s21, 0
	s_cbranch_vccnz .LBB0_9
; %bb.7:                                ;   in Loop: Header=BB0_2 Depth=1
	v_mov_b32_e32 v11, v4
	v_mov_b32_e32 v10, v3
	s_branch .LBB0_2
.LBB0_8:
	v_mov_b32_e32 v1, v8
	v_mov_b32_e32 v3, v10
	;; [unrolled: 1-line block ×4, first 2 shown]
.LBB0_9:
	s_mov_b32 s2, 0x1a98ef7
	s_load_dwordx2 s[0:1], s[4:5], 0x28
	v_mul_hi_u32 v5, v0, s2
	s_lshl_b64 s[14:15], s[14:15], 3
	s_movk_i32 s2, 0x8c
	s_add_u32 s4, s18, s14
	v_mul_u32_u24_e32 v5, 0x9a, v5
	s_waitcnt lgkmcnt(0)
	v_cmp_gt_u64_e64 s[0:1], s[0:1], v[3:4]
	v_sub_u32_e32 v5, v0, v5
	v_cmp_gt_u32_e64 s[2:3], s2, v5
	s_addc_u32 s5, s19, s15
	s_and_b64 s[18:19], s[0:1], s[2:3]
	v_mov_b32_e32 v7, 0
	v_mov_b32_e32 v6, 0
                                        ; implicit-def: $vgpr11
                                        ; implicit-def: $vgpr13
                                        ; implicit-def: $vgpr20
                                        ; implicit-def: $vgpr23
                                        ; implicit-def: $vgpr25
                                        ; implicit-def: $vgpr27
                                        ; implicit-def: $vgpr29
                                        ; implicit-def: $vgpr31
                                        ; implicit-def: $vgpr33
                                        ; implicit-def: $vgpr35
	s_and_saveexec_b64 s[6:7], s[18:19]
	s_cbranch_execz .LBB0_11
; %bb.10:
	s_add_u32 s14, s16, s14
	s_addc_u32 s15, s17, s15
	s_load_dwordx2 s[14:15], s[14:15], 0x0
	v_mov_b32_e32 v12, s9
	v_mov_b32_e32 v6, 0
	s_waitcnt lgkmcnt(0)
	v_mul_lo_u32 v0, s15, v3
	v_mul_lo_u32 v7, s14, v4
	v_mad_u64_u32 v[10:11], s[14:15], s14, v3, 0
	v_add3_u32 v11, v11, v7, v0
	v_lshlrev_b64 v[10:11], 3, v[10:11]
	v_lshlrev_b64 v[7:8], 3, v[8:9]
	v_add_co_u32_e32 v0, vcc, s8, v10
	v_addc_co_u32_e32 v10, vcc, v12, v11, vcc
	v_add_co_u32_e32 v0, vcc, v0, v7
	v_lshlrev_b64 v[6:7], 3, v[5:6]
	v_addc_co_u32_e32 v9, vcc, v10, v8, vcc
	v_add_co_u32_e32 v8, vcc, v0, v6
	v_addc_co_u32_e32 v9, vcc, v9, v7, vcc
	s_movk_i32 s8, 0x1000
	v_add_co_u32_e32 v14, vcc, s8, v8
	v_addc_co_u32_e32 v15, vcc, 0, v9, vcc
	global_load_dwordx2 v[6:7], v[8:9], off
	global_load_dwordx2 v[10:11], v[8:9], off offset:1120
	global_load_dwordx2 v[12:13], v[8:9], off offset:2240
	;; [unrolled: 1-line block ×3, first 2 shown]
	v_add_co_u32_e32 v8, vcc, 0x2000, v8
	v_addc_co_u32_e32 v9, vcc, 0, v9, vcc
	global_load_dwordx2 v[22:23], v[14:15], off offset:384
	global_load_dwordx2 v[24:25], v[14:15], off offset:1504
	;; [unrolled: 1-line block ×7, first 2 shown]
.LBB0_11:
	s_or_b64 exec, exec, s[6:7]
	s_waitcnt vmcnt(0)
	v_add_f32_e32 v36, v10, v34
	v_mul_f32_e32 v0, 0x3f575c64, v36
	v_add_f32_e32 v37, v12, v32
	v_sub_f32_e32 v8, v11, v35
	v_mov_b32_e32 v9, v0
	v_mul_f32_e32 v15, 0x3ed4b147, v37
	v_fmac_f32_e32 v9, 0xbf0a6770, v8
	v_sub_f32_e32 v14, v13, v33
	v_mov_b32_e32 v16, v15
	v_add_f32_e32 v40, v19, v30
	v_add_f32_e32 v9, v6, v9
	v_fmac_f32_e32 v16, 0xbf68dda4, v14
	v_mul_f32_e32 v17, 0xbe11bafb, v40
	v_add_f32_e32 v9, v16, v9
	v_sub_f32_e32 v16, v20, v31
	v_mov_b32_e32 v18, v17
	v_add_f32_e32 v41, v22, v28
	v_fmac_f32_e32 v18, 0xbf7d64f0, v16
	v_mul_f32_e32 v21, 0xbf27a4f4, v41
	v_add_f32_e32 v9, v18, v9
	v_sub_f32_e32 v18, v23, v29
	v_mov_b32_e32 v38, v21
	;; [unrolled: 6-line block ×3, first 2 shown]
	v_fmac_f32_e32 v43, 0xbe903f40, v38
	s_mov_b32 s16, 0x3f575c64
	s_mov_b32 s15, 0x3ed4b147
	;; [unrolled: 1-line block ×5, first 2 shown]
	v_add_f32_e32 v9, v43, v9
	s_and_saveexec_b64 s[6:7], s[2:3]
	s_cbranch_execz .LBB0_13
; %bb.12:
	v_mul_f32_e32 v43, 0xbe903f40, v8
	v_mov_b32_e32 v44, v43
	v_mul_f32_e32 v45, 0x3f0a6770, v14
	v_fmac_f32_e32 v44, 0xbf75a155, v36
	v_mov_b32_e32 v46, v45
	v_add_f32_e32 v44, v6, v44
	v_fmac_f32_e32 v46, 0x3f575c64, v37
	v_add_f32_e32 v44, v46, v44
	v_mul_f32_e32 v46, 0xbf4178ce, v16
	v_mov_b32_e32 v47, v46
	v_fmac_f32_e32 v47, 0xbf27a4f4, v40
	v_add_f32_e32 v44, v47, v44
	v_mul_f32_e32 v47, 0x3f68dda4, v18
	v_fma_f32 v43, v36, s8, -v43
	v_fma_f32 v48, v41, s15, -v47
	v_fmac_f32_e32 v47, 0x3ed4b147, v41
	v_add_f32_e32 v43, v6, v43
	v_fma_f32 v45, v37, s16, -v45
	v_add_f32_e32 v44, v47, v44
	v_mul_f32_e32 v47, 0xbf7d64f0, v38
	v_add_f32_e32 v43, v45, v43
	v_fma_f32 v45, v40, s9, -v46
	v_fma_f32 v49, v42, s14, -v47
	v_fmac_f32_e32 v47, 0xbe11bafb, v42
	v_add_f32_e32 v43, v45, v43
	v_mul_f32_e32 v45, 0xbf4178ce, v8
	v_add_f32_e32 v44, v47, v44
	v_mov_b32_e32 v46, v45
	v_mul_f32_e32 v47, 0x3f7d64f0, v14
	v_add_f32_e32 v43, v48, v43
	v_fmac_f32_e32 v46, 0xbf27a4f4, v36
	v_mov_b32_e32 v48, v47
	v_add_f32_e32 v46, v6, v46
	v_fmac_f32_e32 v48, 0xbe11bafb, v37
	v_add_f32_e32 v46, v48, v46
	v_mul_f32_e32 v48, 0xbf0a6770, v16
	v_add_f32_e32 v43, v49, v43
	v_mov_b32_e32 v49, v48
	v_fmac_f32_e32 v49, 0x3f575c64, v40
	v_add_f32_e32 v46, v49, v46
	v_mul_f32_e32 v49, 0xbe903f40, v18
	v_fma_f32 v45, v36, s9, -v45
	v_fma_f32 v50, v41, s8, -v49
	v_fmac_f32_e32 v49, 0xbf75a155, v41
	v_add_f32_e32 v45, v6, v45
	v_fma_f32 v47, v37, s14, -v47
	v_add_f32_e32 v46, v49, v46
	v_mul_f32_e32 v49, 0x3f68dda4, v38
	v_add_f32_e32 v45, v47, v45
	v_fma_f32 v47, v40, s16, -v48
	v_fma_f32 v51, v42, s15, -v49
	v_fmac_f32_e32 v49, 0x3ed4b147, v42
	v_add_f32_e32 v45, v47, v45
	v_mul_f32_e32 v47, 0xbf7d64f0, v8
	v_add_f32_e32 v46, v49, v46
	v_mov_b32_e32 v48, v47
	v_mul_f32_e32 v49, 0x3e903f40, v14
	v_add_f32_e32 v45, v50, v45
	v_fmac_f32_e32 v48, 0xbe11bafb, v36
	v_mov_b32_e32 v50, v49
	v_add_f32_e32 v48, v6, v48
	v_fmac_f32_e32 v50, 0xbf75a155, v37
	v_add_f32_e32 v48, v50, v48
	v_mul_f32_e32 v50, 0x3f68dda4, v16
	v_add_f32_e32 v45, v51, v45
	v_mov_b32_e32 v51, v50
	v_fmac_f32_e32 v51, 0x3ed4b147, v40
	v_add_f32_e32 v48, v51, v48
	v_mul_f32_e32 v51, 0xbf0a6770, v18
	v_fma_f32 v47, v36, s14, -v47
	v_fma_f32 v52, v41, s16, -v51
	v_fmac_f32_e32 v51, 0x3f575c64, v41
	v_add_f32_e32 v47, v6, v47
	v_fma_f32 v49, v37, s8, -v49
	v_add_f32_e32 v48, v51, v48
	v_mul_f32_e32 v51, 0xbf4178ce, v38
	v_add_f32_e32 v47, v49, v47
	v_fma_f32 v49, v40, s15, -v50
	v_fma_f32 v53, v42, s9, -v51
	v_fmac_f32_e32 v51, 0xbf27a4f4, v42
	v_add_f32_e32 v47, v49, v47
	v_mul_f32_e32 v49, 0xbf68dda4, v8
	v_add_f32_e32 v48, v51, v48
	v_mov_b32_e32 v50, v49
	v_mul_f32_e32 v51, 0xbf4178ce, v14
	v_mul_f32_e32 v8, 0xbf0a6770, v8
	v_add_f32_e32 v47, v52, v47
	v_fmac_f32_e32 v50, 0x3ed4b147, v36
	v_mov_b32_e32 v52, v51
	v_fma_f32 v36, v36, s15, -v49
	v_sub_f32_e32 v0, v0, v8
	v_add_f32_e32 v50, v6, v50
	v_fmac_f32_e32 v52, 0xbf27a4f4, v37
	v_add_f32_e32 v36, v6, v36
	v_add_f32_e32 v0, v6, v0
	;; [unrolled: 1-line block ×4, first 2 shown]
	v_mul_f32_e32 v52, 0x3e903f40, v16
	v_mul_f32_e32 v8, 0xbf68dda4, v14
	v_add_f32_e32 v6, v6, v12
	v_add_f32_e32 v47, v53, v47
	v_mov_b32_e32 v53, v52
	v_sub_f32_e32 v8, v15, v8
	v_add_f32_e32 v6, v6, v19
	v_fmac_f32_e32 v53, 0xbf75a155, v40
	v_add_f32_e32 v0, v8, v0
	v_mul_f32_e32 v8, 0xbf7d64f0, v16
	v_add_f32_e32 v6, v6, v22
	v_add_f32_e32 v50, v53, v50
	v_mul_f32_e32 v53, 0x3f7d64f0, v18
	v_sub_f32_e32 v8, v17, v8
	v_add_f32_e32 v6, v6, v24
	v_mov_b32_e32 v54, v53
	v_add_f32_e32 v0, v8, v0
	v_mul_f32_e32 v8, 0xbf4178ce, v18
	v_add_f32_e32 v6, v6, v26
	v_fmac_f32_e32 v54, 0xbe11bafb, v41
	v_fma_f32 v37, v37, s9, -v51
	v_sub_f32_e32 v8, v21, v8
	v_add_f32_e32 v6, v6, v28
	v_add_f32_e32 v50, v54, v50
	v_mul_f32_e32 v54, 0x3f0a6770, v38
	v_add_f32_e32 v36, v37, v36
	v_fma_f32 v37, v40, s8, -v52
	v_add_f32_e32 v0, v8, v0
	v_mul_f32_e32 v8, 0xbe903f40, v38
	v_add_f32_e32 v6, v6, v30
	v_mov_b32_e32 v55, v54
	v_add_f32_e32 v36, v37, v36
	v_fma_f32 v37, v41, s14, -v53
	v_sub_f32_e32 v8, v39, v8
	v_add_f32_e32 v6, v6, v32
	v_fmac_f32_e32 v55, 0x3f575c64, v42
	v_add_f32_e32 v36, v37, v36
	v_fma_f32 v37, v42, s16, -v54
	v_add_f32_e32 v0, v8, v0
	v_add_f32_e32 v6, v6, v34
	v_mad_u32_u24 v8, v5, 44, 0
	v_add_f32_e32 v50, v55, v50
	v_add_f32_e32 v36, v37, v36
	ds_write2_b32 v8, v6, v0 offset1:1
	ds_write2_b32 v8, v36, v47 offset0:2 offset1:3
	ds_write2_b32 v8, v45, v43 offset0:4 offset1:5
	;; [unrolled: 1-line block ×4, first 2 shown]
	ds_write_b32 v8, v9 offset:40
.LBB0_13:
	s_or_b64 exec, exec, s[6:7]
	v_sub_f32_e32 v46, v10, v34
	v_add_f32_e32 v44, v11, v35
	v_mul_f32_e32 v47, 0xbf0a6770, v46
	v_sub_f32_e32 v43, v12, v32
	v_fma_f32 v0, v44, s16, -v47
	v_add_f32_e32 v41, v13, v33
	v_mul_f32_e32 v45, 0xbf68dda4, v43
	v_sub_f32_e32 v34, v19, v30
	v_add_f32_e32 v0, v7, v0
	v_fma_f32 v6, v41, s15, -v45
	v_add_f32_e32 v32, v20, v31
	v_mul_f32_e32 v42, 0xbf7d64f0, v34
	v_sub_f32_e32 v28, v22, v28
	v_add_f32_e32 v0, v6, v0
	v_fma_f32 v6, v32, s14, -v42
	v_add_f32_e32 v30, v23, v29
	v_mul_f32_e32 v40, 0xbf4178ce, v28
	v_add_f32_e32 v0, v6, v0
	v_fma_f32 v6, v30, s9, -v40
	v_add_f32_e32 v15, v6, v0
	v_lshl_add_u32 v0, v5, 2, 0
	v_sub_f32_e32 v10, v24, v26
	v_add_u32_e32 v8, 0x900, v0
	v_add_u32_e32 v12, 0xe00, v0
	;; [unrolled: 1-line block ×4, first 2 shown]
	s_waitcnt lgkmcnt(0)
	s_barrier
	ds_read2_b32 v[36:37], v0 offset1:154
	ds_read2_b32 v[21:22], v8 offset0:40 offset1:194
	ds_read2_b32 v[18:19], v12 offset0:28 offset1:182
	;; [unrolled: 1-line block ×4, first 2 shown]
	v_add_f32_e32 v6, v25, v27
	v_mul_f32_e32 v26, 0xbe903f40, v10
	v_fma_f32 v48, v6, s8, -v26
	v_add_f32_e32 v15, v48, v15
	s_waitcnt lgkmcnt(0)
	s_barrier
	s_and_saveexec_b64 s[6:7], s[2:3]
	s_cbranch_execz .LBB0_15
; %bb.14:
	v_add_f32_e32 v11, v7, v11
	v_add_f32_e32 v11, v11, v13
	;; [unrolled: 1-line block ×9, first 2 shown]
	v_mul_f32_e32 v33, 0xbe903f40, v46
	v_mul_f32_e32 v48, 0x3f575c64, v44
	v_add_f32_e32 v11, v11, v35
	v_mul_f32_e32 v20, 0xbf68dda4, v46
	s_mov_b32 s2, 0x3ed4b147
	v_mul_f32_e32 v25, 0xbf7d64f0, v46
	s_mov_b32 s3, 0xbe11bafb
	;; [unrolled: 2-line block ×3, first 2 shown]
	s_mov_b32 s9, 0xbf75a155
	v_mov_b32_e32 v35, v33
	v_mul_f32_e32 v49, 0x3ed4b147, v41
	v_add_f32_e32 v13, v48, v47
	v_fma_f32 v23, v44, s2, -v20
	v_fmac_f32_e32 v20, 0x3ed4b147, v44
	v_fma_f32 v27, v44, s3, -v25
	v_fmac_f32_e32 v25, 0xbe11bafb, v44
	;; [unrolled: 2-line block ×3, first 2 shown]
	v_fmac_f32_e32 v35, 0xbf75a155, v44
	v_fma_f32 v33, v44, s9, -v33
	v_add_f32_e32 v13, v7, v13
	v_add_f32_e32 v20, v7, v20
	;; [unrolled: 1-line block ×11, first 2 shown]
	v_mul_f32_e32 v33, 0xbf4178ce, v43
	v_fma_f32 v44, v41, s8, -v33
	v_fmac_f32_e32 v33, 0xbf27a4f4, v41
	v_add_f32_e32 v20, v33, v20
	v_mul_f32_e32 v33, 0x3e903f40, v43
	v_add_f32_e32 v23, v44, v23
	v_fma_f32 v44, v41, s9, -v33
	v_fmac_f32_e32 v33, 0xbf75a155, v41
	v_add_f32_e32 v25, v33, v25
	v_mul_f32_e32 v33, 0x3f7d64f0, v43
	v_add_f32_e32 v27, v44, v27
	v_fma_f32 v44, v41, s3, -v33
	v_fmac_f32_e32 v33, 0xbe11bafb, v41
	v_add_f32_e32 v29, v33, v29
	v_mul_f32_e32 v33, 0x3f0a6770, v43
	s_mov_b32 s14, 0x3f575c64
	v_mul_f32_e32 v50, 0xbe11bafb, v32
	v_mov_b32_e32 v43, v33
	v_fma_f32 v33, v41, s14, -v33
	v_add_f32_e32 v7, v33, v7
	v_add_f32_e32 v33, v50, v42
	;; [unrolled: 1-line block ×3, first 2 shown]
	v_mul_f32_e32 v33, 0x3e903f40, v34
	v_fmac_f32_e32 v43, 0x3f575c64, v41
	v_fma_f32 v41, v32, s9, -v33
	v_fmac_f32_e32 v33, 0xbf75a155, v32
	v_add_f32_e32 v20, v33, v20
	v_mul_f32_e32 v33, 0x3f68dda4, v34
	v_add_f32_e32 v23, v41, v23
	v_fma_f32 v41, v32, s2, -v33
	v_fmac_f32_e32 v33, 0x3ed4b147, v32
	v_add_f32_e32 v25, v33, v25
	v_mul_f32_e32 v33, 0xbf0a6770, v34
	v_add_f32_e32 v27, v41, v27
	v_fma_f32 v41, v32, s14, -v33
	v_fmac_f32_e32 v33, 0x3f575c64, v32
	v_add_f32_e32 v29, v33, v29
	v_mul_f32_e32 v33, 0xbf4178ce, v34
	v_mov_b32_e32 v34, v33
	v_mul_f32_e32 v51, 0xbf27a4f4, v30
	v_fmac_f32_e32 v34, 0xbf27a4f4, v32
	v_fma_f32 v32, v32, s8, -v33
	v_add_f32_e32 v7, v32, v7
	v_add_f32_e32 v32, v51, v40
	;; [unrolled: 1-line block ×3, first 2 shown]
	v_mul_f32_e32 v32, 0x3f7d64f0, v28
	v_fma_f32 v33, v30, s3, -v32
	v_fmac_f32_e32 v32, 0xbe11bafb, v30
	v_add_f32_e32 v20, v32, v20
	v_mul_f32_e32 v32, 0xbf0a6770, v28
	v_add_f32_e32 v23, v33, v23
	v_fma_f32 v33, v30, s14, -v32
	v_fmac_f32_e32 v32, 0x3f575c64, v30
	v_mul_f32_e32 v52, 0xbf75a155, v6
	v_add_f32_e32 v25, v32, v25
	v_mul_f32_e32 v32, 0xbe903f40, v28
	v_add_f32_e32 v27, v33, v27
	v_fma_f32 v33, v30, s9, -v32
	v_fmac_f32_e32 v32, 0xbf75a155, v30
	v_mul_f32_e32 v28, 0x3f68dda4, v28
	v_add_f32_e32 v26, v52, v26
	v_add_f32_e32 v29, v32, v29
	v_mov_b32_e32 v32, v28
	v_fma_f32 v28, v30, s2, -v28
	v_add_f32_e32 v13, v26, v13
	v_mul_f32_e32 v26, 0x3f0a6770, v10
	v_add_f32_e32 v7, v28, v7
	v_fma_f32 v28, v6, s14, -v26
	v_fmac_f32_e32 v26, 0x3f575c64, v6
	v_add_f32_e32 v20, v26, v20
	v_mul_f32_e32 v26, 0xbf4178ce, v10
	v_add_f32_e32 v23, v28, v23
	v_fma_f32 v28, v6, s8, -v26
	v_fmac_f32_e32 v26, 0xbf27a4f4, v6
	v_add_f32_e32 v25, v26, v25
	v_add_f32_e32 v26, v28, v27
	v_mul_f32_e32 v27, 0x3f68dda4, v10
	v_fma_f32 v28, v6, s2, -v27
	v_fmac_f32_e32 v27, 0x3ed4b147, v6
	v_mul_f32_e32 v10, 0xbf7d64f0, v10
	v_add_f32_e32 v31, v44, v31
	v_add_f32_e32 v35, v43, v35
	;; [unrolled: 1-line block ×3, first 2 shown]
	v_mov_b32_e32 v29, v10
	v_add_f32_e32 v31, v41, v31
	v_add_f32_e32 v34, v34, v35
	v_fmac_f32_e32 v32, 0x3ed4b147, v30
	v_fmac_f32_e32 v29, 0xbe11bafb, v6
	v_fma_f32 v6, v6, s3, -v10
	v_add_f32_e32 v31, v33, v31
	v_add_f32_e32 v32, v32, v34
	;; [unrolled: 1-line block ×3, first 2 shown]
	v_mad_u32_u24 v7, v5, 40, v0
	v_add_f32_e32 v28, v28, v31
	v_add_f32_e32 v29, v29, v32
	ds_write2_b32 v7, v11, v13 offset1:1
	ds_write2_b32 v7, v20, v25 offset0:2 offset1:3
	ds_write2_b32 v7, v27, v29 offset0:4 offset1:5
	;; [unrolled: 1-line block ×4, first 2 shown]
	ds_write_b32 v7, v15 offset:40
.LBB0_15:
	s_or_b64 exec, exec, s[6:7]
	s_load_dwordx2 s[2:3], s[4:5], 0x0
	s_movk_i32 s4, 0x75
	v_mul_lo_u16_sdwa v10, v5, s4 dst_sel:DWORD dst_unused:UNUSED_PAD src0_sel:BYTE_0 src1_sel:DWORD
	v_sub_u16_sdwa v11, v5, v10 dst_sel:DWORD dst_unused:UNUSED_PAD src0_sel:DWORD src1_sel:BYTE_1
	v_lshrrev_b16_e32 v11, 1, v11
	v_and_b32_e32 v11, 0x7f, v11
	v_add_u16_sdwa v10, v11, v10 dst_sel:DWORD dst_unused:UNUSED_PAD src0_sel:DWORD src1_sel:BYTE_1
	v_lshrrev_b16_e32 v13, 3, v10
	v_mul_lo_u16_e32 v10, 11, v13
	v_add_u32_e32 v6, 0x9a, v5
	v_sub_u16_e32 v20, v5, v10
	v_mov_b32_e32 v10, 3
	s_mov_b32 s4, 0xba2f
	v_lshlrev_b32_sdwa v23, v10, v20 dst_sel:DWORD dst_unused:UNUSED_PAD src0_sel:DWORD src1_sel:BYTE_0
	v_mul_u32_u24_sdwa v10, v6, s4 dst_sel:DWORD dst_unused:UNUSED_PAD src0_sel:WORD_0 src1_sel:DWORD
	v_lshrrev_b32_e32 v27, 19, v10
	v_add_u32_e32 v51, 0x134, v5
	v_mul_lo_u16_e32 v10, 11, v27
	v_sub_u16_e32 v28, v6, v10
	v_mul_u32_u24_sdwa v10, v51, s4 dst_sel:DWORD dst_unused:UNUSED_PAD src0_sel:WORD_0 src1_sel:DWORD
	v_lshrrev_b32_e32 v35, 19, v10
	v_add_u32_e32 v50, 0x1ce, v5
	v_mul_lo_u16_e32 v10, 11, v35
	v_add_u32_e32 v7, 0x268, v5
	v_sub_u16_e32 v52, v51, v10
	v_mul_u32_u24_sdwa v10, v50, s4 dst_sel:DWORD dst_unused:UNUSED_PAD src0_sel:WORD_0 src1_sel:DWORD
	v_lshrrev_b32_e32 v53, 19, v10
	v_mul_u32_u24_sdwa v10, v7, s4 dst_sel:DWORD dst_unused:UNUSED_PAD src0_sel:WORD_0 src1_sel:DWORD
	v_lshrrev_b32_e32 v54, 19, v10
	v_mul_lo_u16_e32 v10, 11, v54
	v_sub_u16_e32 v55, v7, v10
	v_lshlrev_b32_e32 v10, 3, v55
	s_waitcnt lgkmcnt(0)
	s_barrier
	global_load_dwordx2 v[10:11], v10, s[12:13]
	v_mul_lo_u16_e32 v29, 11, v53
	v_sub_u16_e32 v56, v50, v29
	v_lshlrev_b32_e32 v25, 3, v28
	v_lshlrev_b32_e32 v26, 3, v52
	;; [unrolled: 1-line block ×3, first 2 shown]
	global_load_dwordx2 v[44:45], v23, s[12:13]
	global_load_dwordx2 v[42:43], v25, s[12:13]
	;; [unrolled: 1-line block ×4, first 2 shown]
	ds_read2_b32 v[31:32], v0 offset1:154
	ds_read2_b32 v[25:26], v8 offset0:40 offset1:194
	ds_read2_b32 v[48:49], v12 offset0:28 offset1:182
	ds_read2_b32 v[29:30], v14 offset0:52 offset1:206
	ds_read2_b32 v[46:47], v24 offset0:80 offset1:234
	v_mov_b32_e32 v8, 2
	v_mul_u32_u24_e32 v12, 0x58, v27
	v_lshlrev_b32_e32 v27, 2, v28
	v_mul_u32_u24_e32 v23, 0x58, v53
	v_add3_u32 v53, 0, v12, v27
	v_mul_u32_u24_e32 v12, 0x58, v13
	v_lshlrev_b32_sdwa v8, v8, v20 dst_sel:DWORD dst_unused:UNUSED_PAD src0_sel:DWORD src1_sel:BYTE_0
	v_add3_u32 v57, 0, v12, v8
	v_mul_u32_u24_e32 v14, 0x58, v35
	v_lshlrev_b32_e32 v28, 2, v52
	v_mul_u32_u24_e32 v24, 0x58, v54
	v_lshlrev_b32_e32 v35, 2, v56
	v_add3_u32 v54, 0, v14, v28
	v_lshlrev_b32_e32 v52, 2, v55
	v_add3_u32 v55, 0, v23, v35
	v_add3_u32 v56, 0, v24, v52
	s_waitcnt vmcnt(0) lgkmcnt(0)
	s_barrier
	s_movk_i32 s4, 0x42
	v_cmp_gt_u32_e32 vcc, s4, v5
                                        ; implicit-def: $vgpr52
	v_mul_f32_e32 v8, v47, v11
	v_fma_f32 v8, v17, v10, -v8
	v_sub_f32_e32 v8, v21, v8
	v_fma_f32 v13, v21, 2.0, -v8
	v_mul_f32_e32 v12, v26, v45
	v_mul_f32_e32 v20, v49, v41
	;; [unrolled: 1-line block ×4, first 2 shown]
	v_fma_f32 v12, v22, v44, -v12
	v_fma_f32 v20, v19, v40, -v20
	;; [unrolled: 1-line block ×4, first 2 shown]
	v_sub_f32_e32 v23, v36, v12
	v_sub_f32_e32 v20, v38, v20
	;; [unrolled: 1-line block ×4, first 2 shown]
	v_fma_f32 v21, v36, 2.0, -v23
	v_fma_f32 v27, v38, 2.0, -v20
	;; [unrolled: 1-line block ×3, first 2 shown]
	v_add_u32_e32 v38, 0x680, v0
	v_add_u32_e32 v39, 0xd80, v0
	v_fma_f32 v24, v37, 2.0, -v14
	ds_write2_b32 v57, v21, v23 offset1:11
	ds_write2_b32 v53, v24, v14 offset1:11
	;; [unrolled: 1-line block ×5, first 2 shown]
	s_waitcnt lgkmcnt(0)
	s_barrier
	ds_read2_b32 v[20:21], v0 offset1:220
	ds_read2_b32 v[35:36], v38 offset0:24 offset1:244
	ds_read2_b32 v[27:28], v39 offset0:16 offset1:236
	ds_read_b32 v37, v0 offset:5280
                                        ; implicit-def: $vgpr23
	s_and_saveexec_b64 s[4:5], vcc
	s_cbranch_execz .LBB0_17
; %bb.16:
	v_add_u32_e32 v8, 0x200, v0
	ds_read2_b32 v[12:13], v8 offset0:26 offset1:246
	v_add_u32_e32 v8, 0x900, v0
	v_add_u32_e32 v14, 0x1000, v0
	ds_read2_b32 v[8:9], v8 offset0:18 offset1:238
	ds_read2_b32 v[23:24], v14 offset0:10 offset1:230
	ds_read_b32 v52, v0 offset:5896
.LBB0_17:
	s_or_b64 exec, exec, s[4:5]
	v_mul_f32_e32 v14, v22, v45
	v_mul_f32_e32 v18, v18, v43
	;; [unrolled: 1-line block ×4, first 2 shown]
	v_fmac_f32_e32 v14, v26, v44
	v_fmac_f32_e32 v18, v48, v42
	;; [unrolled: 1-line block ×4, first 2 shown]
	v_mul_f32_e32 v11, v17, v11
	v_fmac_f32_e32 v11, v47, v10
	v_sub_f32_e32 v17, v31, v14
	v_sub_f32_e32 v18, v32, v18
	v_sub_f32_e32 v19, v29, v19
	v_sub_f32_e32 v10, v30, v16
	v_fma_f32 v22, v31, 2.0, -v17
	v_fma_f32 v26, v32, 2.0, -v18
	;; [unrolled: 1-line block ×4, first 2 shown]
	v_sub_f32_e32 v14, v25, v11
	v_fma_f32 v11, v25, 2.0, -v14
	s_waitcnt lgkmcnt(0)
	s_barrier
	ds_write2_b32 v57, v22, v17 offset1:11
	ds_write2_b32 v53, v26, v18 offset1:11
	;; [unrolled: 1-line block ×5, first 2 shown]
	s_waitcnt lgkmcnt(0)
	s_barrier
	ds_read2_b32 v[16:17], v0 offset1:220
	ds_read2_b32 v[29:30], v38 offset0:24 offset1:244
	ds_read2_b32 v[25:26], v39 offset0:16 offset1:236
	ds_read_b32 v34, v0 offset:5280
                                        ; implicit-def: $vgpr18
                                        ; implicit-def: $vgpr42
	s_and_saveexec_b64 s[4:5], vcc
	s_cbranch_execz .LBB0_19
; %bb.18:
	v_add_u32_e32 v10, 0x200, v0
	v_add_u32_e32 v14, 0x900, v0
	;; [unrolled: 1-line block ×3, first 2 shown]
	ds_read2_b32 v[10:11], v10 offset0:26 offset1:246
	ds_read2_b32 v[14:15], v14 offset0:18 offset1:238
	;; [unrolled: 1-line block ×3, first 2 shown]
	ds_read_b32 v42, v0 offset:5896
.LBB0_19:
	s_or_b64 exec, exec, s[4:5]
	v_lshrrev_b16_e32 v22, 1, v5
	v_and_b32_e32 v22, 0x7f, v22
	v_mul_lo_u16_e32 v22, 0xbb, v22
	v_lshrrev_b16_e32 v47, 11, v22
	v_mul_lo_u16_e32 v22, 22, v47
	v_sub_u16_e32 v48, v5, v22
	v_mov_b32_e32 v22, 6
	v_mul_u32_u24_sdwa v22, v48, v22 dst_sel:DWORD dst_unused:UNUSED_PAD src0_sel:BYTE_0 src1_sel:DWORD
	v_lshlrev_b32_e32 v22, 3, v22
	global_load_dwordx4 v[38:41], v22, s[12:13] offset:120
	global_load_dwordx4 v[43:46], v22, s[12:13] offset:104
	;; [unrolled: 1-line block ×3, first 2 shown]
	s_mov_b32 s4, 0xba2f
	s_mov_b32 s6, 0x3f5ff5aa
	;; [unrolled: 1-line block ×5, first 2 shown]
	s_waitcnt vmcnt(2)
	v_mul_f32_e32 v33, v37, v41
	s_waitcnt vmcnt(1)
	v_mul_f32_e32 v32, v36, v44
	s_waitcnt vmcnt(0) lgkmcnt(3)
	v_mul_f32_e32 v22, v17, v54
	v_fma_f32 v22, v21, v53, -v22
	v_mul_f32_e32 v21, v21, v54
	v_mul_f32_e32 v31, v35, v56
	v_fmac_f32_e32 v21, v17, v53
	s_waitcnt lgkmcnt(2)
	v_mul_f32_e32 v17, v29, v56
	v_fmac_f32_e32 v31, v29, v55
	v_mul_f32_e32 v29, v30, v44
	v_fmac_f32_e32 v32, v30, v43
	s_waitcnt lgkmcnt(1)
	v_mul_f32_e32 v30, v25, v46
	v_fma_f32 v30, v27, v45, -v30
	v_mul_f32_e32 v27, v27, v46
	v_fmac_f32_e32 v27, v25, v45
	v_mul_f32_e32 v25, v26, v39
	v_fma_f32 v25, v28, v38, -v25
	v_mul_f32_e32 v28, v28, v39
	v_fmac_f32_e32 v28, v26, v38
	s_waitcnt lgkmcnt(0)
	v_mul_f32_e32 v26, v34, v41
	v_fmac_f32_e32 v33, v34, v40
	v_mul_u32_u24_sdwa v34, v6, s4 dst_sel:DWORD dst_unused:UNUSED_PAD src0_sel:WORD_0 src1_sel:DWORD
	v_lshrrev_b32_e32 v34, 20, v34
	v_mul_lo_u16_e32 v34, 22, v34
	v_sub_u16_e32 v49, v6, v34
	v_mul_u32_u24_e32 v34, 6, v49
	v_lshlrev_b32_e32 v34, 3, v34
	v_fma_f32 v17, v35, v55, -v17
	v_fma_f32 v29, v36, v43, -v29
	;; [unrolled: 1-line block ×3, first 2 shown]
	global_load_dwordx4 v[43:46], v34, s[12:13] offset:120
	global_load_dwordx4 v[38:41], v34, s[12:13] offset:104
	;; [unrolled: 1-line block ×3, first 2 shown]
	s_waitcnt vmcnt(0)
	s_barrier
	v_mul_f32_e32 v35, v13, v54
	v_mul_f32_e32 v34, v11, v54
	v_fmac_f32_e32 v35, v11, v53
	v_mul_f32_e32 v11, v14, v56
	v_fma_f32 v36, v8, v55, -v11
	v_mul_f32_e32 v11, v15, v39
	v_fma_f32 v37, v9, v38, -v11
	v_mul_f32_e32 v9, v9, v39
	v_mul_f32_e32 v11, v18, v41
	v_fmac_f32_e32 v9, v15, v38
	v_fma_f32 v38, v23, v40, -v11
	v_mul_f32_e32 v11, v19, v44
	v_mul_f32_e32 v8, v8, v56
	;; [unrolled: 1-line block ×3, first 2 shown]
	v_fma_f32 v39, v24, v43, -v11
	v_mul_f32_e32 v11, v42, v46
	v_fmac_f32_e32 v8, v14, v55
	v_fmac_f32_e32 v23, v18, v40
	v_fma_f32 v40, v52, v45, -v11
	v_mul_f32_e32 v41, v52, v46
	v_add_f32_e32 v11, v22, v26
	v_add_f32_e32 v14, v17, v25
	v_mul_f32_e32 v24, v24, v44
	v_fmac_f32_e32 v41, v42, v45
	v_add_f32_e32 v18, v29, v30
	v_add_f32_e32 v42, v14, v11
	v_fma_f32 v34, v13, v53, -v34
	v_fmac_f32_e32 v24, v19, v43
	v_sub_f32_e32 v13, v21, v33
	v_sub_f32_e32 v15, v31, v28
	;; [unrolled: 1-line block ×6, first 2 shown]
	v_add_f32_e32 v18, v18, v42
	v_add_f32_e32 v44, v19, v15
	v_sub_f32_e32 v45, v19, v15
	v_sub_f32_e32 v15, v15, v13
	v_add_f32_e32 v20, v20, v18
	v_sub_f32_e32 v19, v13, v19
	v_add_f32_e32 v13, v44, v13
	v_mul_f32_e32 v11, 0x3f4a47b2, v11
	v_mul_f32_e32 v42, 0x3d64c772, v14
	v_mul_f32_e32 v44, 0xbf08b237, v45
	v_mul_f32_e32 v45, 0x3f5ff5aa, v15
	v_mov_b32_e32 v46, v20
	v_fmac_f32_e32 v46, 0xbf955555, v18
	v_fma_f32 v18, v43, s7, -v42
	v_fma_f32 v42, v43, s8, -v11
	v_fmac_f32_e32 v11, 0x3d64c772, v14
	v_fma_f32 v14, v15, s6, -v44
	v_fma_f32 v15, v19, s9, -v45
	v_fmac_f32_e32 v44, 0x3eae86e6, v19
	v_add_f32_e32 v19, v42, v46
	v_fmac_f32_e32 v15, 0x3ee1c552, v13
	v_add_f32_e32 v18, v18, v46
	v_fmac_f32_e32 v14, 0x3ee1c552, v13
	v_add_f32_e32 v42, v15, v19
	v_sub_f32_e32 v15, v19, v15
	v_mov_b32_e32 v19, 2
	v_add_f32_e32 v11, v11, v46
	v_fmac_f32_e32 v44, 0x3ee1c552, v13
	v_sub_f32_e32 v43, v18, v14
	v_add_f32_e32 v14, v14, v18
	v_mul_u32_u24_e32 v18, 0x268, v47
	v_lshlrev_b32_sdwa v19, v19, v48 dst_sel:DWORD dst_unused:UNUSED_PAD src0_sel:DWORD src1_sel:BYTE_0
	v_add_f32_e32 v13, v44, v11
	v_sub_f32_e32 v11, v11, v44
	v_add3_u32 v44, 0, v18, v19
	ds_write2_b32 v44, v20, v13 offset1:22
	ds_write2_b32 v44, v42, v43 offset0:44 offset1:66
	ds_write2_b32 v44, v14, v15 offset0:88 offset1:110
	ds_write_b32 v44, v11 offset:528
	v_lshrrev_b16_e32 v43, 1, v6
	v_lshlrev_b32_e32 v42, 2, v49
	s_and_saveexec_b64 s[4:5], vcc
	s_cbranch_execz .LBB0_21
; %bb.20:
	v_add_f32_e32 v6, v34, v40
	v_add_f32_e32 v11, v37, v38
	v_sub_f32_e32 v13, v6, v11
	v_mul_f32_e32 v13, 0x3f4a47b2, v13
	v_add_f32_e32 v14, v36, v39
	v_sub_f32_e32 v15, v11, v14
	v_mov_b32_e32 v19, v13
	v_mul_f32_e32 v18, 0x3d64c772, v15
	v_fmac_f32_e32 v19, 0x3d64c772, v15
	v_add_f32_e32 v15, v14, v6
	v_add_f32_e32 v11, v11, v15
	;; [unrolled: 1-line block ×3, first 2 shown]
	v_mov_b32_e32 v15, v12
	v_fmac_f32_e32 v15, 0xbf955555, v11
	v_sub_f32_e32 v20, v23, v9
	v_sub_f32_e32 v46, v8, v24
	v_add_f32_e32 v11, v19, v15
	v_sub_f32_e32 v19, v35, v41
	v_sub_f32_e32 v47, v20, v46
	;; [unrolled: 1-line block ×3, first 2 shown]
	v_mul_f32_e32 v47, 0xbf08b237, v47
	v_add_f32_e32 v20, v20, v46
	v_sub_f32_e32 v6, v14, v6
	v_sub_f32_e32 v14, v46, v19
	v_add_f32_e32 v20, v20, v19
	v_fma_f32 v13, v6, s8, -v13
	v_mul_f32_e32 v19, 0x3f5ff5aa, v14
	v_fma_f32 v14, v14, s6, -v47
	v_fma_f32 v6, v6, s7, -v18
	v_fmac_f32_e32 v14, 0x3ee1c552, v20
	v_add_f32_e32 v6, v6, v15
	v_add_f32_e32 v13, v13, v15
	;; [unrolled: 1-line block ×3, first 2 shown]
	v_sub_f32_e32 v6, v6, v14
	v_and_b32_e32 v14, 0x7f, v43
	v_mov_b32_e32 v48, v47
	v_mul_lo_u16_e32 v14, 0xbb, v14
	v_fmac_f32_e32 v48, 0x3eae86e6, v45
	v_lshrrev_b16_e32 v14, 11, v14
	v_fmac_f32_e32 v48, 0x3ee1c552, v20
	v_fma_f32 v19, v45, s9, -v19
	v_mul_u32_u24_e32 v14, 0x268, v14
	v_sub_f32_e32 v49, v11, v48
	v_fmac_f32_e32 v19, 0x3ee1c552, v20
	v_add_f32_e32 v11, v48, v11
	v_add3_u32 v14, 0, v14, v42
	v_sub_f32_e32 v45, v13, v19
	v_add_f32_e32 v13, v19, v13
	ds_write2_b32 v14, v12, v11 offset1:22
	ds_write2_b32 v14, v13, v6 offset0:44 offset1:66
	ds_write2_b32 v14, v15, v45 offset0:88 offset1:110
	ds_write_b32 v14, v49 offset:528
.LBB0_21:
	s_or_b64 exec, exec, s[4:5]
	v_add_f32_e32 v6, v21, v33
	v_add_f32_e32 v12, v31, v28
	v_sub_f32_e32 v13, v17, v25
	v_add_f32_e32 v14, v32, v27
	v_add_f32_e32 v17, v12, v6
	v_sub_f32_e32 v15, v30, v29
	v_sub_f32_e32 v18, v12, v6
	;; [unrolled: 1-line block ×4, first 2 shown]
	v_add_f32_e32 v14, v14, v17
	v_sub_f32_e32 v11, v22, v26
	v_sub_f32_e32 v20, v15, v13
	v_add_f32_e32 v26, v16, v14
	v_add_f32_e32 v19, v15, v13
	v_sub_f32_e32 v15, v11, v15
	v_sub_f32_e32 v13, v13, v11
	v_mul_f32_e32 v6, 0x3f4a47b2, v6
	v_mul_f32_e32 v16, 0x3d64c772, v12
	;; [unrolled: 1-line block ×3, first 2 shown]
	v_mov_b32_e32 v20, v26
	v_add_f32_e32 v11, v19, v11
	v_mul_f32_e32 v19, 0x3f5ff5aa, v13
	v_fmac_f32_e32 v20, 0xbf955555, v14
	v_fma_f32 v14, v18, s7, -v16
	v_fma_f32 v16, v18, s8, -v6
	v_fmac_f32_e32 v6, 0x3d64c772, v12
	v_fma_f32 v12, v13, s6, -v17
	v_fmac_f32_e32 v17, 0x3eae86e6, v15
	v_fma_f32 v13, v15, s9, -v19
	v_add_f32_e32 v6, v6, v20
	v_fmac_f32_e32 v17, 0x3ee1c552, v11
	v_add_f32_e32 v14, v14, v20
	v_add_f32_e32 v15, v16, v20
	v_fmac_f32_e32 v12, 0x3ee1c552, v11
	v_fmac_f32_e32 v13, 0x3ee1c552, v11
	v_sub_f32_e32 v27, v6, v17
	v_add_f32_e32 v32, v17, v6
	v_add_u32_e32 v6, 0x400, v0
	v_add_u32_e32 v21, 0x900, v0
	;; [unrolled: 1-line block ×4, first 2 shown]
	v_sub_f32_e32 v28, v15, v13
	v_add_f32_e32 v29, v12, v14
	v_sub_f32_e32 v30, v14, v12
	v_add_f32_e32 v31, v13, v15
	s_waitcnt lgkmcnt(0)
	s_barrier
	ds_read2_b32 v[11:12], v0 offset1:154
	ds_read2_b32 v[13:14], v6 offset0:52 offset1:206
	ds_read2_b32 v[15:16], v21 offset0:40 offset1:194
	ds_read2_b32 v[17:18], v22 offset0:28 offset1:182
	ds_read2_b32 v[19:20], v25 offset0:80 offset1:234
	s_waitcnt lgkmcnt(0)
	s_barrier
	ds_write2_b32 v44, v26, v27 offset1:22
	ds_write2_b32 v44, v28, v29 offset0:44 offset1:66
	ds_write2_b32 v44, v30, v31 offset0:88 offset1:110
	ds_write_b32 v44, v32 offset:528
	s_and_saveexec_b64 s[4:5], vcc
	s_cbranch_execz .LBB0_23
; %bb.22:
	v_add_f32_e32 v26, v35, v41
	v_add_f32_e32 v8, v8, v24
	;; [unrolled: 1-line block ×4, first 2 shown]
	v_sub_f32_e32 v29, v8, v26
	v_sub_f32_e32 v26, v26, v9
	;; [unrolled: 1-line block ×3, first 2 shown]
	v_add_f32_e32 v9, v9, v28
	v_sub_f32_e32 v24, v36, v39
	v_sub_f32_e32 v23, v38, v37
	v_add_f32_e32 v10, v10, v9
	v_sub_f32_e32 v27, v34, v40
	v_add_f32_e32 v30, v23, v24
	v_sub_f32_e32 v31, v23, v24
	v_mul_f32_e32 v28, 0x3d64c772, v8
	v_mov_b32_e32 v32, v10
	v_sub_f32_e32 v23, v27, v23
	v_sub_f32_e32 v24, v24, v27
	v_add_f32_e32 v27, v30, v27
	v_mul_f32_e32 v26, 0x3f4a47b2, v26
	v_mul_f32_e32 v30, 0xbf08b237, v31
	v_fmac_f32_e32 v32, 0xbf955555, v9
	v_fma_f32 v9, v29, s7, -v28
	s_mov_b32 s7, 0xbf3bfb3b
	v_mul_f32_e32 v31, 0x3f5ff5aa, v24
	v_fma_f32 v28, v29, s7, -v26
	v_fmac_f32_e32 v26, 0x3d64c772, v8
	v_fma_f32 v8, v24, s6, -v30
	s_mov_b32 s6, 0xbeae86e6
	v_fmac_f32_e32 v30, 0x3eae86e6, v23
	v_fma_f32 v23, v23, s6, -v31
	v_add_f32_e32 v24, v26, v32
	v_add_f32_e32 v9, v9, v32
	;; [unrolled: 1-line block ×3, first 2 shown]
	v_fmac_f32_e32 v30, 0x3ee1c552, v27
	v_fmac_f32_e32 v8, 0x3ee1c552, v27
	;; [unrolled: 1-line block ×3, first 2 shown]
	v_sub_f32_e32 v27, v24, v30
	v_sub_f32_e32 v28, v26, v23
	v_add_f32_e32 v29, v8, v9
	v_sub_f32_e32 v8, v9, v8
	v_add_f32_e32 v9, v23, v26
	v_add_f32_e32 v23, v30, v24
	v_and_b32_e32 v24, 0x7f, v43
	v_mul_lo_u16_e32 v24, 0xbb, v24
	v_lshrrev_b16_e32 v24, 11, v24
	v_mul_u32_u24_e32 v24, 0x268, v24
	v_add3_u32 v24, 0, v24, v42
	ds_write2_b32 v24, v10, v27 offset1:22
	ds_write2_b32 v24, v28, v29 offset0:44 offset1:66
	ds_write2_b32 v24, v8, v9 offset0:88 offset1:110
	ds_write_b32 v24, v23 offset:528
.LBB0_23:
	s_or_b64 exec, exec, s[4:5]
	v_lshlrev_b32_e32 v8, 2, v5
	v_mov_b32_e32 v9, 0
	v_lshlrev_b64 v[23:24], 3, v[8:9]
	v_mov_b32_e32 v8, s13
	v_add_co_u32_e32 v23, vcc, s12, v23
	v_addc_co_u32_e32 v24, vcc, v8, v24, vcc
	s_waitcnt lgkmcnt(0)
	s_barrier
	global_load_dwordx4 v[26:29], v[23:24], off offset:1144
	global_load_dwordx4 v[30:33], v[23:24], off offset:1160
	ds_read2_b32 v[23:24], v6 offset0:52 offset1:206
	ds_read2_b32 v[34:35], v0 offset1:154
	ds_read2_b32 v[36:37], v21 offset0:40 offset1:194
	ds_read2_b32 v[38:39], v22 offset0:28 offset1:182
	;; [unrolled: 1-line block ×3, first 2 shown]
	s_waitcnt vmcnt(0) lgkmcnt(0)
	s_barrier
	v_mul_f32_e32 v8, v23, v27
	v_mul_f32_e32 v42, v36, v29
	;; [unrolled: 1-line block ×12, first 2 shown]
	v_fma_f32 v8, v13, v26, -v8
	v_fma_f32 v13, v15, v28, -v42
	v_fmac_f32_e32 v43, v36, v28
	v_fma_f32 v15, v17, v30, -v44
	v_fmac_f32_e32 v45, v38, v30
	v_fma_f32 v17, v19, v32, -v46
	v_mul_f32_e32 v49, v37, v29
	v_mul_f32_e32 v29, v16, v29
	v_fmac_f32_e32 v10, v23, v26
	v_fmac_f32_e32 v47, v40, v32
	;; [unrolled: 1-line block ×3, first 2 shown]
	v_fma_f32 v19, v20, v32, -v53
	v_fmac_f32_e32 v33, v41, v32
	v_add_f32_e32 v20, v11, v8
	v_add_f32_e32 v23, v13, v15
	v_add_f32_e32 v32, v8, v17
	v_add_f32_e32 v39, v43, v45
	v_fma_f32 v16, v16, v28, -v49
	v_fmac_f32_e32 v29, v37, v28
	v_fma_f32 v18, v18, v30, -v52
	v_sub_f32_e32 v28, v8, v13
	v_sub_f32_e32 v30, v17, v15
	;; [unrolled: 1-line block ×5, first 2 shown]
	v_add_f32_e32 v13, v20, v13
	v_fma_f32 v20, -0.5, v23, v11
	v_fma_f32 v11, -0.5, v32, v11
	;; [unrolled: 1-line block ×3, first 2 shown]
	v_mul_f32_e32 v48, v24, v27
	v_mul_f32_e32 v27, v14, v27
	v_sub_f32_e32 v8, v8, v17
	v_add_f32_e32 v23, v28, v30
	v_add_f32_e32 v28, v36, v37
	;; [unrolled: 1-line block ×3, first 2 shown]
	v_mov_b32_e32 v37, v32
	v_fmac_f32_e32 v27, v24, v26
	v_sub_f32_e32 v24, v10, v47
	v_sub_f32_e32 v41, v10, v43
	v_mov_b32_e32 v15, v20
	v_add_f32_e32 v13, v13, v17
	v_fmac_f32_e32 v37, 0xbf737871, v8
	v_sub_f32_e32 v17, v47, v45
	v_fmac_f32_e32 v32, 0x3f737871, v8
	v_fma_f32 v14, v14, v26, -v48
	v_sub_f32_e32 v26, v43, v45
	v_fmac_f32_e32 v20, 0xbf737871, v24
	v_fmac_f32_e32 v15, 0x3f737871, v24
	;; [unrolled: 1-line block ×3, first 2 shown]
	v_add_f32_e32 v17, v41, v17
	v_fmac_f32_e32 v32, 0x3f167918, v40
	v_mov_b32_e32 v36, v11
	v_fmac_f32_e32 v20, 0xbf167918, v26
	v_fmac_f32_e32 v15, 0x3f167918, v26
	;; [unrolled: 1-line block ×4, first 2 shown]
	v_add_f32_e32 v17, v10, v47
	v_fmac_f32_e32 v11, 0x3f737871, v26
	v_fmac_f32_e32 v36, 0xbf737871, v26
	v_fmac_f32_e32 v20, 0x3e9e377a, v23
	v_fmac_f32_e32 v15, 0x3e9e377a, v23
	v_fma_f32 v23, -0.5, v17, v34
	v_fmac_f32_e32 v11, 0xbf167918, v24
	v_fmac_f32_e32 v36, 0x3f167918, v24
	v_mov_b32_e32 v24, v23
	v_add_f32_e32 v38, v34, v10
	v_fmac_f32_e32 v24, 0x3f737871, v40
	v_sub_f32_e32 v10, v43, v10
	v_sub_f32_e32 v17, v45, v47
	v_fmac_f32_e32 v23, 0xbf737871, v40
	v_fmac_f32_e32 v24, 0xbf167918, v8
	v_add_f32_e32 v10, v10, v17
	v_fmac_f32_e32 v23, 0x3f167918, v8
	v_fmac_f32_e32 v24, 0x3e9e377a, v10
	;; [unrolled: 1-line block ×3, first 2 shown]
	v_add_f32_e32 v10, v16, v18
	v_fma_f32 v10, -0.5, v10, v12
	v_sub_f32_e32 v17, v27, v33
	v_mov_b32_e32 v26, v10
	v_add_f32_e32 v30, v38, v43
	v_fmac_f32_e32 v11, 0x3e9e377a, v28
	v_fmac_f32_e32 v36, 0x3e9e377a, v28
	;; [unrolled: 1-line block ×3, first 2 shown]
	v_sub_f32_e32 v28, v29, v31
	v_sub_f32_e32 v34, v14, v16
	;; [unrolled: 1-line block ×3, first 2 shown]
	v_fmac_f32_e32 v10, 0xbf737871, v17
	v_fmac_f32_e32 v26, 0x3f167918, v28
	v_add_f32_e32 v34, v34, v38
	v_fmac_f32_e32 v10, 0xbf167918, v28
	v_fmac_f32_e32 v26, 0x3e9e377a, v34
	;; [unrolled: 1-line block ×3, first 2 shown]
	v_add_f32_e32 v34, v14, v19
	v_add_f32_e32 v8, v12, v14
	v_fmac_f32_e32 v12, -0.5, v34
	v_mov_b32_e32 v34, v12
	v_fmac_f32_e32 v34, 0xbf737871, v28
	v_fmac_f32_e32 v12, 0x3f737871, v28
	;; [unrolled: 1-line block ×4, first 2 shown]
	v_add_f32_e32 v17, v35, v27
	v_add_f32_e32 v17, v17, v29
	v_sub_f32_e32 v38, v16, v14
	v_sub_f32_e32 v39, v18, v19
	v_add_f32_e32 v17, v17, v31
	v_add_f32_e32 v38, v38, v39
	v_add_f32_e32 v28, v17, v33
	v_add_f32_e32 v17, v29, v31
	v_fmac_f32_e32 v34, 0x3e9e377a, v38
	v_fmac_f32_e32 v12, 0x3e9e377a, v38
	v_fma_f32 v38, -0.5, v17, v35
	v_add_f32_e32 v8, v8, v16
	v_sub_f32_e32 v14, v14, v19
	v_mov_b32_e32 v39, v38
	v_add_f32_e32 v8, v8, v18
	v_fmac_f32_e32 v39, 0xbf737871, v14
	v_sub_f32_e32 v16, v16, v18
	v_sub_f32_e32 v17, v27, v29
	v_sub_f32_e32 v18, v33, v31
	v_fmac_f32_e32 v38, 0x3f737871, v14
	v_fmac_f32_e32 v39, 0xbf167918, v16
	v_add_f32_e32 v17, v17, v18
	v_fmac_f32_e32 v38, 0x3f167918, v16
	v_fmac_f32_e32 v39, 0x3e9e377a, v17
	;; [unrolled: 1-line block ×3, first 2 shown]
	v_add_f32_e32 v17, v27, v33
	v_fmac_f32_e32 v35, -0.5, v17
	v_mov_b32_e32 v40, v35
	v_fmac_f32_e32 v40, 0x3f737871, v16
	v_sub_f32_e32 v17, v29, v27
	v_sub_f32_e32 v18, v31, v33
	v_fmac_f32_e32 v35, 0xbf737871, v16
	v_fmac_f32_e32 v40, 0xbf167918, v14
	v_add_f32_e32 v17, v17, v18
	v_fmac_f32_e32 v35, 0x3f167918, v14
	v_add_f32_e32 v8, v8, v19
	v_fmac_f32_e32 v40, 0x3e9e377a, v17
	v_fmac_f32_e32 v35, 0x3e9e377a, v17
	ds_write2_b32 v0, v13, v15 offset1:154
	ds_write2_b32 v6, v36, v11 offset0:52 offset1:206
	ds_write2_b32 v21, v20, v8 offset0:40 offset1:194
	;; [unrolled: 1-line block ×4, first 2 shown]
	s_waitcnt lgkmcnt(0)
	s_barrier
	ds_read2_b32 v[14:15], v0 offset1:154
	ds_read2_b32 v[12:13], v21 offset0:40 offset1:194
	ds_read2_b32 v[16:17], v22 offset0:28 offset1:182
	ds_read2_b32 v[10:11], v6 offset0:52 offset1:206
	ds_read2_b32 v[18:19], v25 offset0:80 offset1:234
	v_add_f32_e32 v30, v30, v45
	v_add_f32_e32 v30, v30, v47
	s_waitcnt lgkmcnt(0)
	s_barrier
	ds_write2_b32 v0, v30, v37 offset1:154
	ds_write2_b32 v6, v24, v23 offset0:52 offset1:206
	ds_write2_b32 v21, v32, v28 offset0:40 offset1:194
	;; [unrolled: 1-line block ×4, first 2 shown]
	s_waitcnt lgkmcnt(0)
	s_barrier
	s_and_saveexec_b64 s[4:5], s[0:1]
	s_cbranch_execz .LBB0_25
; %bb.24:
	v_mov_b32_e32 v8, v9
	v_lshlrev_b64 v[20:21], 3, v[7:8]
	v_mov_b32_e32 v8, s13
	v_add_co_u32_e32 v6, vcc, s12, v20
	v_addc_co_u32_e32 v21, vcc, v8, v21, vcc
	v_add_co_u32_e32 v20, vcc, 0x1000, v6
	v_mov_b32_e32 v6, v9
	v_lshlrev_b64 v[5:6], 3, v[5:6]
	s_movk_i32 s5, 0x2000
	v_add_co_u32_e64 v24, s[0:1], s12, v5
	v_addc_co_u32_e64 v8, s[0:1], v8, v6, s[0:1]
	v_add_co_u32_e64 v22, s[0:1], s5, v24
	s_movk_i32 s4, 0x1000
	v_addc_co_u32_e64 v23, s[0:1], 0, v8, s[0:1]
	v_add_co_u32_e64 v24, s[0:1], s4, v24
	v_addc_co_u32_e64 v25, s[0:1], 0, v8, s[0:1]
	global_load_dwordx2 v[26:27], v[22:23], off offset:1576
	global_load_dwordx2 v[28:29], v[24:25], off offset:3208
	;; [unrolled: 1-line block ×3, first 2 shown]
	v_addc_co_u32_e32 v21, vcc, 0, v21, vcc
	global_load_dwordx2 v[24:25], v[20:21], off offset:1976
	global_load_dwordx2 v[32:33], v[22:23], off offset:344
	v_mul_lo_u32 v8, s3, v3
	v_mul_lo_u32 v40, s2, v4
	v_mad_u64_u32 v[3:4], s[0:1], s2, v3, 0
	v_add_u32_e32 v22, 0x900, v0
	v_add_u32_e32 v34, 0x1200, v0
	;; [unrolled: 1-line block ×4, first 2 shown]
	ds_read2_b32 v[20:21], v0 offset1:154
	ds_read2_b32 v[22:23], v22 offset0:40 offset1:194
	ds_read2_b32 v[34:35], v34 offset0:80 offset1:234
	;; [unrolled: 1-line block ×4, first 2 shown]
	v_add3_u32 v4, v4, v40, v8
	v_lshlrev_b64 v[3:4], 3, v[3:4]
	v_mov_b32_e32 v0, s11
	v_add_co_u32_e32 v3, vcc, s10, v3
	v_addc_co_u32_e32 v4, vcc, v0, v4, vcc
	v_lshlrev_b64 v[0:1], 3, v[1:2]
	s_mov_b32 s0, 0x551c979b
	s_movk_i32 s1, 0x302
	s_waitcnt vmcnt(4)
	v_mul_f32_e32 v8, v18, v27
	s_waitcnt vmcnt(3)
	v_mul_f32_e32 v40, v16, v29
	s_waitcnt lgkmcnt(0)
	v_mul_f32_e32 v29, v38, v29
	s_waitcnt vmcnt(2)
	v_mul_f32_e32 v41, v13, v31
	s_waitcnt vmcnt(1)
	v_mul_f32_e32 v42, v19, v25
	v_mul_f32_e32 v25, v35, v25
	v_fma_f32 v16, v16, v28, -v29
	v_fmac_f32_e32 v41, v23, v30
	v_mul_f32_e32 v31, v23, v31
	v_fmac_f32_e32 v42, v35, v24
	v_fma_f32 v25, v19, v24, -v25
	v_sub_f32_e32 v16, v15, v16
	v_sub_f32_e32 v24, v20, v41
	v_fma_f32 v13, v13, v30, -v31
	v_fma_f32 v31, v15, 2.0, -v16
	v_fma_f32 v15, v20, 2.0, -v24
	v_add_co_u32_e32 v20, vcc, v3, v0
	v_addc_co_u32_e32 v4, vcc, v4, v1, vcc
	v_add_co_u32_e32 v0, vcc, v20, v5
	v_mul_hi_u32 v5, v51, s0
	v_mul_f32_e32 v27, v34, v27
	v_addc_co_u32_e32 v1, vcc, v4, v6, vcc
	v_fmac_f32_e32 v8, v34, v26
	v_fma_f32 v18, v18, v26, -v27
	s_waitcnt vmcnt(0)
	v_mul_f32_e32 v26, v39, v33
	v_fmac_f32_e32 v40, v38, v28
	v_sub_f32_e32 v23, v14, v13
	v_add_co_u32_e32 v2, vcc, s4, v0
	v_mul_f32_e32 v34, v17, v33
	v_sub_f32_e32 v19, v37, v8
	v_fma_f32 v8, v17, v32, -v26
	v_sub_f32_e32 v17, v21, v40
	v_fma_f32 v14, v14, 2.0, -v23
	v_addc_co_u32_e32 v3, vcc, 0, v1, vcc
	v_fmac_f32_e32 v34, v39, v32
	v_fma_f32 v32, v21, 2.0, -v17
	global_store_dwordx2 v[0:1], v[14:15], off
	global_store_dwordx2 v[2:3], v[23:24], off offset:2064
	global_store_dwordx2 v[0:1], v[31:32], off offset:1232
	;; [unrolled: 1-line block ×3, first 2 shown]
	v_lshrrev_b32_e32 v2, 8, v5
	v_sub_f32_e32 v29, v10, v8
	v_mul_u32_u24_e32 v8, 0x302, v2
	v_lshlrev_b64 v[2:3], 3, v[8:9]
	v_sub_f32_e32 v18, v11, v18
	v_sub_f32_e32 v30, v36, v34
	v_add_co_u32_e32 v2, vcc, v0, v2
	v_mul_hi_u32 v5, v50, s0
	v_fma_f32 v27, v11, 2.0, -v18
	v_fma_f32 v11, v36, 2.0, -v30
	;; [unrolled: 1-line block ×3, first 2 shown]
	v_addc_co_u32_e32 v3, vcc, v1, v3, vcc
	global_store_dwordx2 v[2:3], v[10:11], off offset:2464
	v_add_co_u32_e32 v2, vcc, s5, v2
	v_addc_co_u32_e32 v3, vcc, 0, v3, vcc
	global_store_dwordx2 v[2:3], v[29:30], off offset:432
	v_lshrrev_b32_e32 v2, 8, v5
	v_mul_u32_u24_e32 v8, 0x302, v2
	v_lshlrev_b64 v[2:3], 3, v[8:9]
	v_fma_f32 v28, v37, 2.0, -v19
	v_add_co_u32_e32 v0, vcc, v0, v2
	v_mul_hi_u32 v2, v7, s0
	v_addc_co_u32_e32 v1, vcc, v1, v3, vcc
	global_store_dwordx2 v[0:1], v[27:28], off offset:3696
	v_add_co_u32_e32 v0, vcc, s5, v0
	v_addc_co_u32_e32 v1, vcc, 0, v1, vcc
	global_store_dwordx2 v[0:1], v[18:19], off offset:1664
	v_lshrrev_b32_e32 v0, 8, v2
	v_mad_u32_u24 v8, v0, s1, v7
	v_lshlrev_b64 v[0:1], 3, v[8:9]
	v_sub_f32_e32 v26, v22, v42
	v_sub_f32_e32 v25, v12, v25
	v_add_co_u32_e32 v0, vcc, v20, v0
	v_fma_f32 v13, v22, 2.0, -v26
	v_fma_f32 v12, v12, 2.0, -v25
	v_addc_co_u32_e32 v1, vcc, v4, v1, vcc
	global_store_dwordx2 v[0:1], v[12:13], off
	v_add_co_u32_e32 v0, vcc, 0x1000, v0
	v_addc_co_u32_e32 v1, vcc, 0, v1, vcc
	global_store_dwordx2 v[0:1], v[25:26], off offset:2064
.LBB0_25:
	s_endpgm
	.section	.rodata,"a",@progbits
	.p2align	6, 0x0
	.amdhsa_kernel fft_rtc_fwd_len1540_factors_11_2_7_5_2_wgs_154_tpt_154_halfLds_sp_op_CI_CI_unitstride_sbrr_dirReg
		.amdhsa_group_segment_fixed_size 0
		.amdhsa_private_segment_fixed_size 0
		.amdhsa_kernarg_size 104
		.amdhsa_user_sgpr_count 6
		.amdhsa_user_sgpr_private_segment_buffer 1
		.amdhsa_user_sgpr_dispatch_ptr 0
		.amdhsa_user_sgpr_queue_ptr 0
		.amdhsa_user_sgpr_kernarg_segment_ptr 1
		.amdhsa_user_sgpr_dispatch_id 0
		.amdhsa_user_sgpr_flat_scratch_init 0
		.amdhsa_user_sgpr_private_segment_size 0
		.amdhsa_uses_dynamic_stack 0
		.amdhsa_system_sgpr_private_segment_wavefront_offset 0
		.amdhsa_system_sgpr_workgroup_id_x 1
		.amdhsa_system_sgpr_workgroup_id_y 0
		.amdhsa_system_sgpr_workgroup_id_z 0
		.amdhsa_system_sgpr_workgroup_info 0
		.amdhsa_system_vgpr_workitem_id 0
		.amdhsa_next_free_vgpr 58
		.amdhsa_next_free_sgpr 28
		.amdhsa_reserve_vcc 1
		.amdhsa_reserve_flat_scratch 0
		.amdhsa_float_round_mode_32 0
		.amdhsa_float_round_mode_16_64 0
		.amdhsa_float_denorm_mode_32 3
		.amdhsa_float_denorm_mode_16_64 3
		.amdhsa_dx10_clamp 1
		.amdhsa_ieee_mode 1
		.amdhsa_fp16_overflow 0
		.amdhsa_exception_fp_ieee_invalid_op 0
		.amdhsa_exception_fp_denorm_src 0
		.amdhsa_exception_fp_ieee_div_zero 0
		.amdhsa_exception_fp_ieee_overflow 0
		.amdhsa_exception_fp_ieee_underflow 0
		.amdhsa_exception_fp_ieee_inexact 0
		.amdhsa_exception_int_div_zero 0
	.end_amdhsa_kernel
	.text
.Lfunc_end0:
	.size	fft_rtc_fwd_len1540_factors_11_2_7_5_2_wgs_154_tpt_154_halfLds_sp_op_CI_CI_unitstride_sbrr_dirReg, .Lfunc_end0-fft_rtc_fwd_len1540_factors_11_2_7_5_2_wgs_154_tpt_154_halfLds_sp_op_CI_CI_unitstride_sbrr_dirReg
                                        ; -- End function
	.section	.AMDGPU.csdata,"",@progbits
; Kernel info:
; codeLenInByte = 8144
; NumSgprs: 32
; NumVgprs: 58
; ScratchSize: 0
; MemoryBound: 0
; FloatMode: 240
; IeeeMode: 1
; LDSByteSize: 0 bytes/workgroup (compile time only)
; SGPRBlocks: 3
; VGPRBlocks: 14
; NumSGPRsForWavesPerEU: 32
; NumVGPRsForWavesPerEU: 58
; Occupancy: 4
; WaveLimiterHint : 1
; COMPUTE_PGM_RSRC2:SCRATCH_EN: 0
; COMPUTE_PGM_RSRC2:USER_SGPR: 6
; COMPUTE_PGM_RSRC2:TRAP_HANDLER: 0
; COMPUTE_PGM_RSRC2:TGID_X_EN: 1
; COMPUTE_PGM_RSRC2:TGID_Y_EN: 0
; COMPUTE_PGM_RSRC2:TGID_Z_EN: 0
; COMPUTE_PGM_RSRC2:TIDIG_COMP_CNT: 0
	.type	__hip_cuid_5e918805cad33c8e,@object ; @__hip_cuid_5e918805cad33c8e
	.section	.bss,"aw",@nobits
	.globl	__hip_cuid_5e918805cad33c8e
__hip_cuid_5e918805cad33c8e:
	.byte	0                               ; 0x0
	.size	__hip_cuid_5e918805cad33c8e, 1

	.ident	"AMD clang version 19.0.0git (https://github.com/RadeonOpenCompute/llvm-project roc-6.4.0 25133 c7fe45cf4b819c5991fe208aaa96edf142730f1d)"
	.section	".note.GNU-stack","",@progbits
	.addrsig
	.addrsig_sym __hip_cuid_5e918805cad33c8e
	.amdgpu_metadata
---
amdhsa.kernels:
  - .args:
      - .actual_access:  read_only
        .address_space:  global
        .offset:         0
        .size:           8
        .value_kind:     global_buffer
      - .offset:         8
        .size:           8
        .value_kind:     by_value
      - .actual_access:  read_only
        .address_space:  global
        .offset:         16
        .size:           8
        .value_kind:     global_buffer
      - .actual_access:  read_only
        .address_space:  global
        .offset:         24
        .size:           8
        .value_kind:     global_buffer
      - .actual_access:  read_only
        .address_space:  global
        .offset:         32
        .size:           8
        .value_kind:     global_buffer
      - .offset:         40
        .size:           8
        .value_kind:     by_value
      - .actual_access:  read_only
        .address_space:  global
        .offset:         48
        .size:           8
        .value_kind:     global_buffer
      - .actual_access:  read_only
        .address_space:  global
        .offset:         56
        .size:           8
        .value_kind:     global_buffer
      - .offset:         64
        .size:           4
        .value_kind:     by_value
      - .actual_access:  read_only
        .address_space:  global
        .offset:         72
        .size:           8
        .value_kind:     global_buffer
      - .actual_access:  read_only
        .address_space:  global
        .offset:         80
        .size:           8
        .value_kind:     global_buffer
      - .actual_access:  read_only
        .address_space:  global
        .offset:         88
        .size:           8
        .value_kind:     global_buffer
      - .actual_access:  write_only
        .address_space:  global
        .offset:         96
        .size:           8
        .value_kind:     global_buffer
    .group_segment_fixed_size: 0
    .kernarg_segment_align: 8
    .kernarg_segment_size: 104
    .language:       OpenCL C
    .language_version:
      - 2
      - 0
    .max_flat_workgroup_size: 154
    .name:           fft_rtc_fwd_len1540_factors_11_2_7_5_2_wgs_154_tpt_154_halfLds_sp_op_CI_CI_unitstride_sbrr_dirReg
    .private_segment_fixed_size: 0
    .sgpr_count:     32
    .sgpr_spill_count: 0
    .symbol:         fft_rtc_fwd_len1540_factors_11_2_7_5_2_wgs_154_tpt_154_halfLds_sp_op_CI_CI_unitstride_sbrr_dirReg.kd
    .uniform_work_group_size: 1
    .uses_dynamic_stack: false
    .vgpr_count:     58
    .vgpr_spill_count: 0
    .wavefront_size: 64
amdhsa.target:   amdgcn-amd-amdhsa--gfx906
amdhsa.version:
  - 1
  - 2
...

	.end_amdgpu_metadata
